;; amdgpu-corpus repo=vllm-project/vllm kind=compiled arch=gfx1030 opt=O3
	.amdgcn_target "amdgcn-amd-amdhsa--gfx1030"
	.amdhsa_code_object_version 6
	.text
	.protected	_Z22compute_expert_offsetsPKiPiS1_ib ; -- Begin function _Z22compute_expert_offsetsPKiPiS1_ib
	.globl	_Z22compute_expert_offsetsPKiPiS1_ib
	.p2align	8
	.type	_Z22compute_expert_offsetsPKiPiS1_ib,@function
_Z22compute_expert_offsetsPKiPiS1_ib:   ; @_Z22compute_expert_offsetsPKiPiS1_ib
; %bb.0:
	s_clause 0x1
	s_load_dwordx2 s[6:7], s[4:5], 0x18
	s_load_dwordx4 s[0:3], s[4:5], 0x8
	v_mov_b32_e32 v0, 0
	s_waitcnt lgkmcnt(0)
	s_cmp_lt_i32 s6, 1
	global_store_dword v0, v0, s[0:1]
	s_cbranch_scc1 .LBB0_3
; %bb.1:
	s_load_dwordx2 s[4:5], s[4:5], 0x0
	s_bitcmp1_b32 s7, 0
	s_mov_b32 s7, 0
	s_cselect_b32 s8, 4, 0
	s_waitcnt lgkmcnt(0)
	s_add_u32 s4, s4, s8
	s_addc_u32 s5, s5, 0
	s_add_u32 s0, s0, 4
	s_addc_u32 s1, s1, 0
	.p2align	6
.LBB0_2:                                ; =>This Inner Loop Header: Depth=1
	s_load_dword s8, s[4:5], 0x0
	v_mov_b32_e32 v1, s7
	s_add_i32 s6, s6, -1
	global_store_dword v0, v1, s[2:3]
	s_waitcnt lgkmcnt(0)
	s_add_i32 s7, s8, s7
	s_add_u32 s4, s4, 12
	v_mov_b32_e32 v2, s7
	s_addc_u32 s5, s5, 0
	global_store_dword v0, v2, s[0:1]
	s_add_u32 s0, s0, 4
	s_addc_u32 s1, s1, 0
	s_add_u32 s2, s2, 4
	s_addc_u32 s3, s3, 0
	s_cmp_eq_u32 s6, 0
	s_cbranch_scc0 .LBB0_2
.LBB0_3:
	s_endpgm
	.section	.rodata,"a",@progbits
	.p2align	6, 0x0
	.amdhsa_kernel _Z22compute_expert_offsetsPKiPiS1_ib
		.amdhsa_group_segment_fixed_size 0
		.amdhsa_private_segment_fixed_size 0
		.amdhsa_kernarg_size 32
		.amdhsa_user_sgpr_count 6
		.amdhsa_user_sgpr_private_segment_buffer 1
		.amdhsa_user_sgpr_dispatch_ptr 0
		.amdhsa_user_sgpr_queue_ptr 0
		.amdhsa_user_sgpr_kernarg_segment_ptr 1
		.amdhsa_user_sgpr_dispatch_id 0
		.amdhsa_user_sgpr_flat_scratch_init 0
		.amdhsa_user_sgpr_private_segment_size 0
		.amdhsa_wavefront_size32 1
		.amdhsa_uses_dynamic_stack 0
		.amdhsa_system_sgpr_private_segment_wavefront_offset 0
		.amdhsa_system_sgpr_workgroup_id_x 1
		.amdhsa_system_sgpr_workgroup_id_y 0
		.amdhsa_system_sgpr_workgroup_id_z 0
		.amdhsa_system_sgpr_workgroup_info 0
		.amdhsa_system_vgpr_workitem_id 0
		.amdhsa_next_free_vgpr 3
		.amdhsa_next_free_sgpr 9
		.amdhsa_reserve_vcc 0
		.amdhsa_reserve_flat_scratch 0
		.amdhsa_float_round_mode_32 0
		.amdhsa_float_round_mode_16_64 0
		.amdhsa_float_denorm_mode_32 3
		.amdhsa_float_denorm_mode_16_64 3
		.amdhsa_dx10_clamp 1
		.amdhsa_ieee_mode 1
		.amdhsa_fp16_overflow 0
		.amdhsa_workgroup_processor_mode 1
		.amdhsa_memory_ordered 1
		.amdhsa_forward_progress 1
		.amdhsa_shared_vgpr_count 0
		.amdhsa_exception_fp_ieee_invalid_op 0
		.amdhsa_exception_fp_denorm_src 0
		.amdhsa_exception_fp_ieee_div_zero 0
		.amdhsa_exception_fp_ieee_overflow 0
		.amdhsa_exception_fp_ieee_underflow 0
		.amdhsa_exception_fp_ieee_inexact 0
		.amdhsa_exception_int_div_zero 0
	.end_amdhsa_kernel
	.text
.Lfunc_end0:
	.size	_Z22compute_expert_offsetsPKiPiS1_ib, .Lfunc_end0-_Z22compute_expert_offsetsPKiPiS1_ib
                                        ; -- End function
	.set _Z22compute_expert_offsetsPKiPiS1_ib.num_vgpr, 3
	.set _Z22compute_expert_offsetsPKiPiS1_ib.num_agpr, 0
	.set _Z22compute_expert_offsetsPKiPiS1_ib.numbered_sgpr, 9
	.set _Z22compute_expert_offsetsPKiPiS1_ib.num_named_barrier, 0
	.set _Z22compute_expert_offsetsPKiPiS1_ib.private_seg_size, 0
	.set _Z22compute_expert_offsetsPKiPiS1_ib.uses_vcc, 0
	.set _Z22compute_expert_offsetsPKiPiS1_ib.uses_flat_scratch, 0
	.set _Z22compute_expert_offsetsPKiPiS1_ib.has_dyn_sized_stack, 0
	.set _Z22compute_expert_offsetsPKiPiS1_ib.has_recursion, 0
	.set _Z22compute_expert_offsetsPKiPiS1_ib.has_indirect_call, 0
	.section	.AMDGPU.csdata,"",@progbits
; Kernel info:
; codeLenInByte = 208
; TotalNumSgprs: 9
; NumVgprs: 3
; ScratchSize: 0
; MemoryBound: 0
; FloatMode: 240
; IeeeMode: 1
; LDSByteSize: 0 bytes/workgroup (compile time only)
; SGPRBlocks: 0
; VGPRBlocks: 0
; NumSGPRsForWavesPerEU: 9
; NumVGPRsForWavesPerEU: 3
; Occupancy: 16
; WaveLimiterHint : 0
; COMPUTE_PGM_RSRC2:SCRATCH_EN: 0
; COMPUTE_PGM_RSRC2:USER_SGPR: 6
; COMPUTE_PGM_RSRC2:TRAP_HANDLER: 0
; COMPUTE_PGM_RSRC2:TGID_X_EN: 1
; COMPUTE_PGM_RSRC2:TGID_Y_EN: 0
; COMPUTE_PGM_RSRC2:TGID_Z_EN: 0
; COMPUTE_PGM_RSRC2:TIDIG_COMP_CNT: 0
	.text
	.protected	_Z33compute_expert_blockscale_offsetsPKiPiS1_S1_ib ; -- Begin function _Z33compute_expert_blockscale_offsetsPKiPiS1_S1_ib
	.globl	_Z33compute_expert_blockscale_offsetsPKiPiS1_S1_ib
	.p2align	8
	.type	_Z33compute_expert_blockscale_offsetsPKiPiS1_S1_ib,@function
_Z33compute_expert_blockscale_offsetsPKiPiS1_S1_ib: ; @_Z33compute_expert_blockscale_offsetsPKiPiS1_S1_ib
; %bb.0:
	s_clause 0x1
	s_load_dwordx2 s[6:7], s[4:5], 0x20
	s_load_dwordx4 s[0:3], s[4:5], 0x8
	v_mov_b32_e32 v0, 0
	s_waitcnt lgkmcnt(0)
	global_store_dword v0, v0, s[0:1]
	global_store_dword v0, v0, s[2:3]
	s_cmp_lt_i32 s6, 1
	s_cbranch_scc1 .LBB1_3
; %bb.1:
	s_clause 0x1
	s_load_dwordx2 s[8:9], s[4:5], 0x0
	s_load_dwordx2 s[4:5], s[4:5], 0x18
	s_bitcmp1_b32 s7, 0
	s_mov_b32 s7, 0
	s_cselect_b32 s10, 4, 0
	s_waitcnt lgkmcnt(0)
	s_add_u32 s8, s8, s10
	s_addc_u32 s9, s9, 0
	s_add_u32 s2, s2, 4
	s_addc_u32 s3, s3, 0
	s_add_u32 s0, s0, 4
	s_addc_u32 s1, s1, 0
	s_mov_b32 s10, 0
	.p2align	6
.LBB1_2:                                ; =>This Inner Loop Header: Depth=1
	s_load_dword s11, s[8:9], 0x0
	v_mov_b32_e32 v1, s7
	s_add_i32 s6, s6, -1
	global_store_dword v0, v1, s[4:5]
	s_waitcnt lgkmcnt(0)
	s_add_i32 s12, s11, 0x7f
	s_add_i32 s7, s11, s7
	s_ashr_i32 s11, s12, 31
	v_mov_b32_e32 v1, s7
	s_lshr_b32 s11, s11, 25
	s_add_i32 s12, s12, s11
	global_store_dword v0, v1, s[0:1]
	s_and_b32 s11, s12, 0xffffff80
	s_add_i32 s10, s11, s10
	s_add_u32 s8, s8, 12
	v_mov_b32_e32 v2, s10
	s_addc_u32 s9, s9, 0
	global_store_dword v0, v2, s[2:3]
	s_add_u32 s2, s2, 4
	s_addc_u32 s3, s3, 0
	s_add_u32 s0, s0, 4
	s_addc_u32 s1, s1, 0
	;; [unrolled: 2-line block ×3, first 2 shown]
	s_cmp_eq_u32 s6, 0
	s_cbranch_scc0 .LBB1_2
.LBB1_3:
	s_endpgm
	.section	.rodata,"a",@progbits
	.p2align	6, 0x0
	.amdhsa_kernel _Z33compute_expert_blockscale_offsetsPKiPiS1_S1_ib
		.amdhsa_group_segment_fixed_size 0
		.amdhsa_private_segment_fixed_size 0
		.amdhsa_kernarg_size 40
		.amdhsa_user_sgpr_count 6
		.amdhsa_user_sgpr_private_segment_buffer 1
		.amdhsa_user_sgpr_dispatch_ptr 0
		.amdhsa_user_sgpr_queue_ptr 0
		.amdhsa_user_sgpr_kernarg_segment_ptr 1
		.amdhsa_user_sgpr_dispatch_id 0
		.amdhsa_user_sgpr_flat_scratch_init 0
		.amdhsa_user_sgpr_private_segment_size 0
		.amdhsa_wavefront_size32 1
		.amdhsa_uses_dynamic_stack 0
		.amdhsa_system_sgpr_private_segment_wavefront_offset 0
		.amdhsa_system_sgpr_workgroup_id_x 1
		.amdhsa_system_sgpr_workgroup_id_y 0
		.amdhsa_system_sgpr_workgroup_id_z 0
		.amdhsa_system_sgpr_workgroup_info 0
		.amdhsa_system_vgpr_workitem_id 0
		.amdhsa_next_free_vgpr 3
		.amdhsa_next_free_sgpr 13
		.amdhsa_reserve_vcc 0
		.amdhsa_reserve_flat_scratch 0
		.amdhsa_float_round_mode_32 0
		.amdhsa_float_round_mode_16_64 0
		.amdhsa_float_denorm_mode_32 3
		.amdhsa_float_denorm_mode_16_64 3
		.amdhsa_dx10_clamp 1
		.amdhsa_ieee_mode 1
		.amdhsa_fp16_overflow 0
		.amdhsa_workgroup_processor_mode 1
		.amdhsa_memory_ordered 1
		.amdhsa_forward_progress 1
		.amdhsa_shared_vgpr_count 0
		.amdhsa_exception_fp_ieee_invalid_op 0
		.amdhsa_exception_fp_denorm_src 0
		.amdhsa_exception_fp_ieee_div_zero 0
		.amdhsa_exception_fp_ieee_overflow 0
		.amdhsa_exception_fp_ieee_underflow 0
		.amdhsa_exception_fp_ieee_inexact 0
		.amdhsa_exception_int_div_zero 0
	.end_amdhsa_kernel
	.text
.Lfunc_end1:
	.size	_Z33compute_expert_blockscale_offsetsPKiPiS1_S1_ib, .Lfunc_end1-_Z33compute_expert_blockscale_offsetsPKiPiS1_S1_ib
                                        ; -- End function
	.set _Z33compute_expert_blockscale_offsetsPKiPiS1_S1_ib.num_vgpr, 3
	.set _Z33compute_expert_blockscale_offsetsPKiPiS1_S1_ib.num_agpr, 0
	.set _Z33compute_expert_blockscale_offsetsPKiPiS1_S1_ib.numbered_sgpr, 13
	.set _Z33compute_expert_blockscale_offsetsPKiPiS1_S1_ib.num_named_barrier, 0
	.set _Z33compute_expert_blockscale_offsetsPKiPiS1_S1_ib.private_seg_size, 0
	.set _Z33compute_expert_blockscale_offsetsPKiPiS1_S1_ib.uses_vcc, 0
	.set _Z33compute_expert_blockscale_offsetsPKiPiS1_S1_ib.uses_flat_scratch, 0
	.set _Z33compute_expert_blockscale_offsetsPKiPiS1_S1_ib.has_dyn_sized_stack, 0
	.set _Z33compute_expert_blockscale_offsetsPKiPiS1_S1_ib.has_recursion, 0
	.set _Z33compute_expert_blockscale_offsetsPKiPiS1_S1_ib.has_indirect_call, 0
	.section	.AMDGPU.csdata,"",@progbits
; Kernel info:
; codeLenInByte = 260
; TotalNumSgprs: 13
; NumVgprs: 3
; ScratchSize: 0
; MemoryBound: 0
; FloatMode: 240
; IeeeMode: 1
; LDSByteSize: 0 bytes/workgroup (compile time only)
; SGPRBlocks: 0
; VGPRBlocks: 0
; NumSGPRsForWavesPerEU: 13
; NumVGPRsForWavesPerEU: 3
; Occupancy: 16
; WaveLimiterHint : 0
; COMPUTE_PGM_RSRC2:SCRATCH_EN: 0
; COMPUTE_PGM_RSRC2:USER_SGPR: 6
; COMPUTE_PGM_RSRC2:TRAP_HANDLER: 0
; COMPUTE_PGM_RSRC2:TGID_X_EN: 1
; COMPUTE_PGM_RSRC2:TGID_Y_EN: 0
; COMPUTE_PGM_RSRC2:TGID_Z_EN: 0
; COMPUTE_PGM_RSRC2:TIDIG_COMP_CNT: 0
	.text
	.protected	_Z17compute_arg_sortsPKiS0_PiS1_S1_ii ; -- Begin function _Z17compute_arg_sortsPKiS0_PiS1_S1_ii
	.globl	_Z17compute_arg_sortsPKiS0_PiS1_S1_ii
	.p2align	8
	.type	_Z17compute_arg_sortsPKiS0_PiS1_S1_ii,@function
_Z17compute_arg_sortsPKiS0_PiS1_S1_ii:  ; @_Z17compute_arg_sortsPKiS0_PiS1_S1_ii
; %bb.0:
	s_load_dwordx2 s[0:1], s[4:5], 0x28
	s_mov_b32 s2, exec_lo
	s_waitcnt lgkmcnt(0)
	v_cmpx_gt_i32_e64 s0, v0
	s_cbranch_execz .LBB2_11
; %bb.1:
	s_clause 0x2
	s_load_dword s2, s[4:5], 0x30
	s_load_dwordx8 s[8:15], s[4:5], 0x0
	s_load_dwordx2 s[4:5], s[4:5], 0x20
	v_mov_b32_e32 v6, 0
	s_waitcnt lgkmcnt(0)
	s_ashr_i32 s3, s2, 31
	s_lshl_b64 s[2:3], s[2:3], 2
	s_add_u32 s10, s10, s2
	s_addc_u32 s11, s11, s3
	s_cmp_eq_u32 s6, 0
	s_cselect_b32 s16, -1, 0
	s_ashr_i32 s7, s6, 31
	s_lshl_b64 s[2:3], s[6:7], 2
	s_mov_b32 s7, 0
	s_add_u32 s2, s4, s2
	s_addc_u32 s3, s5, s3
	s_abs_i32 s4, s1
	s_ashr_i32 s1, s1, 31
	v_cvt_f32_u32_e32 v1, s4
	s_sub_i32 s5, 0, s4
	v_rcp_iflag_f32_e32 v1, v1
	v_mul_f32_e32 v1, 0x4f7ffffe, v1
	v_cvt_u32_f32_e32 v1, v1
	v_mul_lo_u32 v2, s5, v1
	s_load_dword s5, s[10:11], 0x0
	s_xor_b32 s10, s16, -1
	v_mul_hi_u32 v2, v1, v2
	v_add_nc_u32_e32 v5, v1, v2
	s_branch .LBB2_3
.LBB2_2:                                ;   in Loop: Header=BB2_3 Depth=1
	s_or_b32 exec_lo, exec_lo, s11
	v_add_nc_u32_e32 v0, 0x200, v0
	v_cmp_le_i32_e32 vcc_lo, s0, v0
	s_or_b32 s7, vcc_lo, s7
	s_andn2_b32 exec_lo, exec_lo, s7
	s_cbranch_execz .LBB2_11
.LBB2_3:                                ; =>This Inner Loop Header: Depth=1
	v_ashrrev_i32_e32 v1, 31, v0
	s_mov_b32 s16, -1
	v_lshlrev_b64 v[1:2], 2, v[0:1]
	v_add_co_u32 v3, vcc_lo, s8, v1
	v_add_co_ci_u32_e64 v4, null, s9, v2, vcc_lo
	global_load_dword v4, v[3:4], off
	s_waitcnt lgkmcnt(0)
	v_mov_b32_e32 v3, s5
	s_waitcnt vmcnt(0)
	v_cmp_ne_u32_e32 vcc_lo, -1, v4
	s_or_b32 s17, s10, vcc_lo
	s_and_saveexec_b32 s11, s17
	s_cbranch_execz .LBB2_9
; %bb.4:                                ;   in Loop: Header=BB2_3 Depth=1
	s_mov_b32 s17, 0
	s_mov_b32 s16, exec_lo
                                        ; implicit-def: $vgpr3
	v_cmpx_eq_u32_e64 s6, v4
	s_cbranch_execz .LBB2_8
; %bb.5:                                ;   in Loop: Header=BB2_3 Depth=1
	s_mov_b32 s18, exec_lo
	s_mov_b32 s17, exec_lo
	v_mbcnt_lo_u32_b32 v3, s18, 0
                                        ; implicit-def: $vgpr4
	v_cmpx_eq_u32_e32 0, v3
	s_cbranch_execz .LBB2_7
; %bb.6:                                ;   in Loop: Header=BB2_3 Depth=1
	s_bcnt1_i32_b32 s18, s18
	v_mov_b32_e32 v4, s18
	global_atomic_add v4, v6, v4, s[2:3] glc
.LBB2_7:                                ;   in Loop: Header=BB2_3 Depth=1
	s_or_b32 exec_lo, exec_lo, s17
	v_sub_nc_u32_e32 v7, 0, v0
	s_waitcnt vmcnt(0)
	v_readfirstlane_b32 s18, v4
	v_ashrrev_i32_e32 v4, 31, v0
	s_mov_b32 s17, exec_lo
	v_max_i32_e32 v7, v0, v7
	v_add_nc_u32_e32 v3, s18, v3
	v_mul_hi_u32 v8, v7, v5
	v_mul_lo_u32 v9, v8, s4
	v_sub_nc_u32_e32 v7, v7, v9
	v_add_nc_u32_e32 v9, 1, v8
	v_subrev_nc_u32_e32 v10, s4, v7
	v_cmp_le_u32_e32 vcc_lo, s4, v7
	v_cndmask_b32_e32 v8, v8, v9, vcc_lo
	v_cndmask_b32_e32 v7, v7, v10, vcc_lo
	v_xor_b32_e32 v10, s1, v4
	v_ashrrev_i32_e32 v4, 31, v3
	v_add_nc_u32_e32 v9, 1, v8
	v_cmp_le_u32_e32 vcc_lo, s4, v7
	v_cndmask_b32_e32 v7, v8, v9, vcc_lo
	v_xor_b32_e32 v9, v7, v10
	v_lshlrev_b64 v[7:8], 2, v[3:4]
	v_sub_nc_u32_e32 v4, v9, v10
	v_add_co_u32 v7, vcc_lo, s12, v7
	v_add_co_ci_u32_e64 v8, null, s13, v8, vcc_lo
	global_store_dword v[7:8], v4, off
.LBB2_8:                                ;   in Loop: Header=BB2_3 Depth=1
	s_or_b32 exec_lo, exec_lo, s16
	s_orn2_b32 s16, s17, exec_lo
.LBB2_9:                                ;   in Loop: Header=BB2_3 Depth=1
	s_or_b32 exec_lo, exec_lo, s11
	s_and_saveexec_b32 s11, s16
	s_cbranch_execz .LBB2_2
; %bb.10:                               ;   in Loop: Header=BB2_3 Depth=1
	v_add_co_u32 v1, vcc_lo, s14, v1
	v_add_co_ci_u32_e64 v2, null, s15, v2, vcc_lo
	global_store_dword v[1:2], v3, off
	s_branch .LBB2_2
.LBB2_11:
	s_endpgm
	.section	.rodata,"a",@progbits
	.p2align	6, 0x0
	.amdhsa_kernel _Z17compute_arg_sortsPKiS0_PiS1_S1_ii
		.amdhsa_group_segment_fixed_size 0
		.amdhsa_private_segment_fixed_size 0
		.amdhsa_kernarg_size 304
		.amdhsa_user_sgpr_count 6
		.amdhsa_user_sgpr_private_segment_buffer 1
		.amdhsa_user_sgpr_dispatch_ptr 0
		.amdhsa_user_sgpr_queue_ptr 0
		.amdhsa_user_sgpr_kernarg_segment_ptr 1
		.amdhsa_user_sgpr_dispatch_id 0
		.amdhsa_user_sgpr_flat_scratch_init 0
		.amdhsa_user_sgpr_private_segment_size 0
		.amdhsa_wavefront_size32 1
		.amdhsa_uses_dynamic_stack 0
		.amdhsa_system_sgpr_private_segment_wavefront_offset 0
		.amdhsa_system_sgpr_workgroup_id_x 1
		.amdhsa_system_sgpr_workgroup_id_y 0
		.amdhsa_system_sgpr_workgroup_id_z 0
		.amdhsa_system_sgpr_workgroup_info 0
		.amdhsa_system_vgpr_workitem_id 0
		.amdhsa_next_free_vgpr 11
		.amdhsa_next_free_sgpr 19
		.amdhsa_reserve_vcc 1
		.amdhsa_reserve_flat_scratch 0
		.amdhsa_float_round_mode_32 0
		.amdhsa_float_round_mode_16_64 0
		.amdhsa_float_denorm_mode_32 3
		.amdhsa_float_denorm_mode_16_64 3
		.amdhsa_dx10_clamp 1
		.amdhsa_ieee_mode 1
		.amdhsa_fp16_overflow 0
		.amdhsa_workgroup_processor_mode 1
		.amdhsa_memory_ordered 1
		.amdhsa_forward_progress 1
		.amdhsa_shared_vgpr_count 0
		.amdhsa_exception_fp_ieee_invalid_op 0
		.amdhsa_exception_fp_denorm_src 0
		.amdhsa_exception_fp_ieee_div_zero 0
		.amdhsa_exception_fp_ieee_overflow 0
		.amdhsa_exception_fp_ieee_underflow 0
		.amdhsa_exception_fp_ieee_inexact 0
		.amdhsa_exception_int_div_zero 0
	.end_amdhsa_kernel
	.text
.Lfunc_end2:
	.size	_Z17compute_arg_sortsPKiS0_PiS1_S1_ii, .Lfunc_end2-_Z17compute_arg_sortsPKiS0_PiS1_S1_ii
                                        ; -- End function
	.set _Z17compute_arg_sortsPKiS0_PiS1_S1_ii.num_vgpr, 11
	.set _Z17compute_arg_sortsPKiS0_PiS1_S1_ii.num_agpr, 0
	.set _Z17compute_arg_sortsPKiS0_PiS1_S1_ii.numbered_sgpr, 19
	.set _Z17compute_arg_sortsPKiS0_PiS1_S1_ii.num_named_barrier, 0
	.set _Z17compute_arg_sortsPKiS0_PiS1_S1_ii.private_seg_size, 0
	.set _Z17compute_arg_sortsPKiS0_PiS1_S1_ii.uses_vcc, 1
	.set _Z17compute_arg_sortsPKiS0_PiS1_S1_ii.uses_flat_scratch, 0
	.set _Z17compute_arg_sortsPKiS0_PiS1_S1_ii.has_dyn_sized_stack, 0
	.set _Z17compute_arg_sortsPKiS0_PiS1_S1_ii.has_recursion, 0
	.set _Z17compute_arg_sortsPKiS0_PiS1_S1_ii.has_indirect_call, 0
	.section	.AMDGPU.csdata,"",@progbits
; Kernel info:
; codeLenInByte = 516
; TotalNumSgprs: 21
; NumVgprs: 11
; ScratchSize: 0
; MemoryBound: 0
; FloatMode: 240
; IeeeMode: 1
; LDSByteSize: 0 bytes/workgroup (compile time only)
; SGPRBlocks: 0
; VGPRBlocks: 1
; NumSGPRsForWavesPerEU: 21
; NumVGPRsForWavesPerEU: 11
; Occupancy: 16
; WaveLimiterHint : 0
; COMPUTE_PGM_RSRC2:SCRATCH_EN: 0
; COMPUTE_PGM_RSRC2:USER_SGPR: 6
; COMPUTE_PGM_RSRC2:TRAP_HANDLER: 0
; COMPUTE_PGM_RSRC2:TGID_X_EN: 1
; COMPUTE_PGM_RSRC2:TGID_Y_EN: 0
; COMPUTE_PGM_RSRC2:TGID_Z_EN: 0
; COMPUTE_PGM_RSRC2:TIDIG_COMP_CNT: 0
	.section	.text._Z21compute_problem_sizesILb1EEvPKiPiS2_S2_iiib,"axG",@progbits,_Z21compute_problem_sizesILb1EEvPKiPiS2_S2_iiib,comdat
	.protected	_Z21compute_problem_sizesILb1EEvPKiPiS2_S2_iiib ; -- Begin function _Z21compute_problem_sizesILb1EEvPKiPiS2_S2_iiib
	.globl	_Z21compute_problem_sizesILb1EEvPKiPiS2_S2_iiib
	.p2align	8
	.type	_Z21compute_problem_sizesILb1EEvPKiPiS2_S2_iiib,@function
_Z21compute_problem_sizesILb1EEvPKiPiS2_S2_iiib: ; @_Z21compute_problem_sizesILb1EEvPKiPiS2_S2_iiib
; %bb.0:
	s_load_dwordx4 s[8:11], s[4:5], 0x20
	v_mov_b32_e32 v3, 0
	s_mov_b32 s1, exec_lo
	s_waitcnt lgkmcnt(0)
	v_cmpx_gt_i32_e64 s8, v0
	s_cbranch_execz .LBB3_4
; %bb.1:
	s_load_dwordx2 s[2:3], s[4:5], 0x0
	v_lshlrev_b32_e32 v1, 2, v0
	v_mov_b32_e32 v3, 0
	v_mov_b32_e32 v4, v0
	s_waitcnt lgkmcnt(0)
	v_add_co_u32 v1, s0, s2, v1
	v_add_co_ci_u32_e64 v2, null, s3, 0, s0
	s_mov_b32 s2, 0
	.p2align	6
.LBB3_2:                                ; =>This Inner Loop Header: Depth=1
	global_load_dword v5, v[1:2], off
	v_add_nc_u32_e32 v4, 0x200, v4
	v_add_co_u32 v1, vcc_lo, 0x800, v1
	v_add_co_ci_u32_e64 v2, null, 0, v2, vcc_lo
	v_cmp_le_i32_e32 vcc_lo, s8, v4
	s_or_b32 s2, vcc_lo, s2
	s_waitcnt vmcnt(0)
	v_cmp_eq_u32_e64 s0, s6, v5
	v_add_co_ci_u32_e64 v3, null, 0, v3, s0
	s_andn2_b32 exec_lo, exec_lo, s2
	s_cbranch_execnz .LBB3_2
; %bb.3:
	s_or_b32 exec_lo, exec_lo, s2
.LBB3_4:
	s_or_b32 exec_lo, exec_lo, s1
	s_mov_b32 s0, exec_lo
	s_mov_b32 s2, 0
.LBB3_5:                                ; =>This Inner Loop Header: Depth=1
	s_ff1_i32_b32 s1, s0
	v_readlane_b32 s3, v3, s1
	s_lshl_b32 s1, 1, s1
	s_andn2_b32 s0, s0, s1
	s_add_i32 s2, s2, s3
	s_cmp_lg_u32 s0, 0
	s_cbranch_scc1 .LBB3_5
; %bb.6:
	s_load_dwordx2 s[0:1], s[4:5], 0x18
	s_ashr_i32 s7, s6, 31
	v_mbcnt_lo_u32_b32 v1, exec_lo, 0
	s_lshl_b64 s[12:13], s[6:7], 2
	s_mov_b32 s3, exec_lo
	s_waitcnt lgkmcnt(0)
	s_add_u32 s0, s0, s12
	s_addc_u32 s1, s1, s13
	v_cmpx_eq_u32_e32 0, v1
	s_xor_b32 s3, exec_lo, s3
	s_cbranch_execz .LBB3_8
; %bb.7:
	v_mov_b32_e32 v1, 0
	v_mov_b32_e32 v2, s2
	global_atomic_add v1, v2, s[0:1]
.LBB3_8:
	s_or_b32 exec_lo, exec_lo, s3
	s_waitcnt_vscnt null, 0x0
	s_barrier
	buffer_gl0_inv
	s_mov_b32 s2, exec_lo
	v_cmpx_eq_u32_e32 0, v0
	s_cbranch_execz .LBB3_10
; %bb.9:
	v_mov_b32_e32 v3, 0
	s_and_b32 s7, s11, 1
	v_mov_b32_e32 v2, s10
	global_load_dword v1, v3, s[0:1]
	s_load_dwordx4 s[0:3], s[4:5], 0x8
	s_mul_i32 s4, s6, 3
	s_lshl_b32 s6, s9, s7
	s_ashr_i32 s5, s4, 31
	v_mov_b32_e32 v0, s6
	s_lshl_b64 s[4:5], s[4:5], 2
	s_waitcnt lgkmcnt(0)
	s_add_u32 s0, s0, s4
	s_addc_u32 s1, s1, s5
	s_waitcnt vmcnt(0)
	global_store_dwordx3 v3, v[0:2], s[0:1]
	v_mov_b32_e32 v0, s10
	v_mov_b32_e32 v2, s9
	s_add_u32 s0, s2, s4
	s_addc_u32 s1, s3, s5
	global_store_dwordx3 v3, v[0:2], s[0:1]
.LBB3_10:
	s_endpgm
	.section	.rodata,"a",@progbits
	.p2align	6, 0x0
	.amdhsa_kernel _Z21compute_problem_sizesILb1EEvPKiPiS2_S2_iiib
		.amdhsa_group_segment_fixed_size 0
		.amdhsa_private_segment_fixed_size 0
		.amdhsa_kernarg_size 48
		.amdhsa_user_sgpr_count 6
		.amdhsa_user_sgpr_private_segment_buffer 1
		.amdhsa_user_sgpr_dispatch_ptr 0
		.amdhsa_user_sgpr_queue_ptr 0
		.amdhsa_user_sgpr_kernarg_segment_ptr 1
		.amdhsa_user_sgpr_dispatch_id 0
		.amdhsa_user_sgpr_flat_scratch_init 0
		.amdhsa_user_sgpr_private_segment_size 0
		.amdhsa_wavefront_size32 1
		.amdhsa_uses_dynamic_stack 0
		.amdhsa_system_sgpr_private_segment_wavefront_offset 0
		.amdhsa_system_sgpr_workgroup_id_x 1
		.amdhsa_system_sgpr_workgroup_id_y 0
		.amdhsa_system_sgpr_workgroup_id_z 0
		.amdhsa_system_sgpr_workgroup_info 0
		.amdhsa_system_vgpr_workitem_id 0
		.amdhsa_next_free_vgpr 6
		.amdhsa_next_free_sgpr 14
		.amdhsa_reserve_vcc 1
		.amdhsa_reserve_flat_scratch 0
		.amdhsa_float_round_mode_32 0
		.amdhsa_float_round_mode_16_64 0
		.amdhsa_float_denorm_mode_32 3
		.amdhsa_float_denorm_mode_16_64 3
		.amdhsa_dx10_clamp 1
		.amdhsa_ieee_mode 1
		.amdhsa_fp16_overflow 0
		.amdhsa_workgroup_processor_mode 1
		.amdhsa_memory_ordered 1
		.amdhsa_forward_progress 1
		.amdhsa_shared_vgpr_count 0
		.amdhsa_exception_fp_ieee_invalid_op 0
		.amdhsa_exception_fp_denorm_src 0
		.amdhsa_exception_fp_ieee_div_zero 0
		.amdhsa_exception_fp_ieee_overflow 0
		.amdhsa_exception_fp_ieee_underflow 0
		.amdhsa_exception_fp_ieee_inexact 0
		.amdhsa_exception_int_div_zero 0
	.end_amdhsa_kernel
	.section	.text._Z21compute_problem_sizesILb1EEvPKiPiS2_S2_iiib,"axG",@progbits,_Z21compute_problem_sizesILb1EEvPKiPiS2_S2_iiib,comdat
.Lfunc_end3:
	.size	_Z21compute_problem_sizesILb1EEvPKiPiS2_S2_iiib, .Lfunc_end3-_Z21compute_problem_sizesILb1EEvPKiPiS2_S2_iiib
                                        ; -- End function
	.set _Z21compute_problem_sizesILb1EEvPKiPiS2_S2_iiib.num_vgpr, 6
	.set _Z21compute_problem_sizesILb1EEvPKiPiS2_S2_iiib.num_agpr, 0
	.set _Z21compute_problem_sizesILb1EEvPKiPiS2_S2_iiib.numbered_sgpr, 14
	.set _Z21compute_problem_sizesILb1EEvPKiPiS2_S2_iiib.num_named_barrier, 0
	.set _Z21compute_problem_sizesILb1EEvPKiPiS2_S2_iiib.private_seg_size, 0
	.set _Z21compute_problem_sizesILb1EEvPKiPiS2_S2_iiib.uses_vcc, 1
	.set _Z21compute_problem_sizesILb1EEvPKiPiS2_S2_iiib.uses_flat_scratch, 0
	.set _Z21compute_problem_sizesILb1EEvPKiPiS2_S2_iiib.has_dyn_sized_stack, 0
	.set _Z21compute_problem_sizesILb1EEvPKiPiS2_S2_iiib.has_recursion, 0
	.set _Z21compute_problem_sizesILb1EEvPKiPiS2_S2_iiib.has_indirect_call, 0
	.section	.AMDGPU.csdata,"",@progbits
; Kernel info:
; codeLenInByte = 448
; TotalNumSgprs: 16
; NumVgprs: 6
; ScratchSize: 0
; MemoryBound: 0
; FloatMode: 240
; IeeeMode: 1
; LDSByteSize: 0 bytes/workgroup (compile time only)
; SGPRBlocks: 0
; VGPRBlocks: 0
; NumSGPRsForWavesPerEU: 16
; NumVGPRsForWavesPerEU: 6
; Occupancy: 16
; WaveLimiterHint : 0
; COMPUTE_PGM_RSRC2:SCRATCH_EN: 0
; COMPUTE_PGM_RSRC2:USER_SGPR: 6
; COMPUTE_PGM_RSRC2:TRAP_HANDLER: 0
; COMPUTE_PGM_RSRC2:TGID_X_EN: 1
; COMPUTE_PGM_RSRC2:TGID_Y_EN: 0
; COMPUTE_PGM_RSRC2:TGID_Z_EN: 0
; COMPUTE_PGM_RSRC2:TIDIG_COMP_CNT: 0
	.section	.text._Z21compute_problem_sizesILb0EEvPKiPiS2_S2_iiib,"axG",@progbits,_Z21compute_problem_sizesILb0EEvPKiPiS2_S2_iiib,comdat
	.protected	_Z21compute_problem_sizesILb0EEvPKiPiS2_S2_iiib ; -- Begin function _Z21compute_problem_sizesILb0EEvPKiPiS2_S2_iiib
	.globl	_Z21compute_problem_sizesILb0EEvPKiPiS2_S2_iiib
	.p2align	8
	.type	_Z21compute_problem_sizesILb0EEvPKiPiS2_S2_iiib,@function
_Z21compute_problem_sizesILb0EEvPKiPiS2_S2_iiib: ; @_Z21compute_problem_sizesILb0EEvPKiPiS2_S2_iiib
; %bb.0:
	s_load_dwordx4 s[8:11], s[4:5], 0x20
	v_mov_b32_e32 v3, 0
	s_mov_b32 s1, exec_lo
	s_waitcnt lgkmcnt(0)
	v_cmpx_gt_i32_e64 s8, v0
	s_cbranch_execz .LBB4_4
; %bb.1:
	s_load_dwordx2 s[2:3], s[4:5], 0x0
	v_lshlrev_b32_e32 v1, 2, v0
	v_mov_b32_e32 v3, 0
	v_mov_b32_e32 v4, v0
	s_waitcnt lgkmcnt(0)
	v_add_co_u32 v1, s0, s2, v1
	v_add_co_ci_u32_e64 v2, null, s3, 0, s0
	s_mov_b32 s2, 0
	.p2align	6
.LBB4_2:                                ; =>This Inner Loop Header: Depth=1
	global_load_dword v5, v[1:2], off
	v_add_nc_u32_e32 v4, 0x200, v4
	v_add_co_u32 v1, vcc_lo, 0x800, v1
	v_add_co_ci_u32_e64 v2, null, 0, v2, vcc_lo
	v_cmp_le_i32_e32 vcc_lo, s8, v4
	s_or_b32 s2, vcc_lo, s2
	s_waitcnt vmcnt(0)
	v_cmp_eq_u32_e64 s0, s6, v5
	v_add_co_ci_u32_e64 v3, null, 0, v3, s0
	s_andn2_b32 exec_lo, exec_lo, s2
	s_cbranch_execnz .LBB4_2
; %bb.3:
	s_or_b32 exec_lo, exec_lo, s2
.LBB4_4:
	s_or_b32 exec_lo, exec_lo, s1
	s_mov_b32 s0, exec_lo
	s_mov_b32 s2, 0
.LBB4_5:                                ; =>This Inner Loop Header: Depth=1
	s_ff1_i32_b32 s1, s0
	v_readlane_b32 s3, v3, s1
	s_lshl_b32 s1, 1, s1
	s_andn2_b32 s0, s0, s1
	s_add_i32 s2, s2, s3
	s_cmp_lg_u32 s0, 0
	s_cbranch_scc1 .LBB4_5
; %bb.6:
	s_load_dwordx2 s[0:1], s[4:5], 0x18
	s_ashr_i32 s7, s6, 31
	v_mbcnt_lo_u32_b32 v1, exec_lo, 0
	s_lshl_b64 s[12:13], s[6:7], 2
	s_mov_b32 s3, exec_lo
	s_waitcnt lgkmcnt(0)
	s_add_u32 s0, s0, s12
	s_addc_u32 s1, s1, s13
	v_cmpx_eq_u32_e32 0, v1
	s_xor_b32 s3, exec_lo, s3
	s_cbranch_execz .LBB4_8
; %bb.7:
	v_mov_b32_e32 v1, 0
	v_mov_b32_e32 v2, s2
	global_atomic_add v1, v2, s[0:1]
.LBB4_8:
	s_or_b32 exec_lo, exec_lo, s3
	s_waitcnt_vscnt null, 0x0
	s_barrier
	buffer_gl0_inv
	s_mov_b32 s2, exec_lo
	v_cmpx_eq_u32_e32 0, v0
	s_cbranch_execz .LBB4_10
; %bb.9:
	v_mov_b32_e32 v3, 0
	s_and_b32 s7, s11, 1
	v_mov_b32_e32 v2, s10
	global_load_dword v0, v3, s[0:1]
	s_load_dwordx4 s[0:3], s[4:5], 0x8
	s_mul_i32 s4, s6, 3
	s_lshl_b32 s6, s9, s7
	s_ashr_i32 s5, s4, 31
	v_mov_b32_e32 v1, s6
	s_lshl_b64 s[4:5], s[4:5], 2
	s_waitcnt lgkmcnt(0)
	s_add_u32 s0, s0, s4
	s_addc_u32 s1, s1, s5
	s_waitcnt vmcnt(0)
	global_store_dwordx3 v3, v[0:2], s[0:1]
	v_mov_b32_e32 v1, s10
	v_mov_b32_e32 v2, s9
	s_add_u32 s0, s2, s4
	s_addc_u32 s1, s3, s5
	global_store_dwordx3 v3, v[0:2], s[0:1]
.LBB4_10:
	s_endpgm
	.section	.rodata,"a",@progbits
	.p2align	6, 0x0
	.amdhsa_kernel _Z21compute_problem_sizesILb0EEvPKiPiS2_S2_iiib
		.amdhsa_group_segment_fixed_size 0
		.amdhsa_private_segment_fixed_size 0
		.amdhsa_kernarg_size 48
		.amdhsa_user_sgpr_count 6
		.amdhsa_user_sgpr_private_segment_buffer 1
		.amdhsa_user_sgpr_dispatch_ptr 0
		.amdhsa_user_sgpr_queue_ptr 0
		.amdhsa_user_sgpr_kernarg_segment_ptr 1
		.amdhsa_user_sgpr_dispatch_id 0
		.amdhsa_user_sgpr_flat_scratch_init 0
		.amdhsa_user_sgpr_private_segment_size 0
		.amdhsa_wavefront_size32 1
		.amdhsa_uses_dynamic_stack 0
		.amdhsa_system_sgpr_private_segment_wavefront_offset 0
		.amdhsa_system_sgpr_workgroup_id_x 1
		.amdhsa_system_sgpr_workgroup_id_y 0
		.amdhsa_system_sgpr_workgroup_id_z 0
		.amdhsa_system_sgpr_workgroup_info 0
		.amdhsa_system_vgpr_workitem_id 0
		.amdhsa_next_free_vgpr 6
		.amdhsa_next_free_sgpr 14
		.amdhsa_reserve_vcc 1
		.amdhsa_reserve_flat_scratch 0
		.amdhsa_float_round_mode_32 0
		.amdhsa_float_round_mode_16_64 0
		.amdhsa_float_denorm_mode_32 3
		.amdhsa_float_denorm_mode_16_64 3
		.amdhsa_dx10_clamp 1
		.amdhsa_ieee_mode 1
		.amdhsa_fp16_overflow 0
		.amdhsa_workgroup_processor_mode 1
		.amdhsa_memory_ordered 1
		.amdhsa_forward_progress 1
		.amdhsa_shared_vgpr_count 0
		.amdhsa_exception_fp_ieee_invalid_op 0
		.amdhsa_exception_fp_denorm_src 0
		.amdhsa_exception_fp_ieee_div_zero 0
		.amdhsa_exception_fp_ieee_overflow 0
		.amdhsa_exception_fp_ieee_underflow 0
		.amdhsa_exception_fp_ieee_inexact 0
		.amdhsa_exception_int_div_zero 0
	.end_amdhsa_kernel
	.section	.text._Z21compute_problem_sizesILb0EEvPKiPiS2_S2_iiib,"axG",@progbits,_Z21compute_problem_sizesILb0EEvPKiPiS2_S2_iiib,comdat
.Lfunc_end4:
	.size	_Z21compute_problem_sizesILb0EEvPKiPiS2_S2_iiib, .Lfunc_end4-_Z21compute_problem_sizesILb0EEvPKiPiS2_S2_iiib
                                        ; -- End function
	.set _Z21compute_problem_sizesILb0EEvPKiPiS2_S2_iiib.num_vgpr, 6
	.set _Z21compute_problem_sizesILb0EEvPKiPiS2_S2_iiib.num_agpr, 0
	.set _Z21compute_problem_sizesILb0EEvPKiPiS2_S2_iiib.numbered_sgpr, 14
	.set _Z21compute_problem_sizesILb0EEvPKiPiS2_S2_iiib.num_named_barrier, 0
	.set _Z21compute_problem_sizesILb0EEvPKiPiS2_S2_iiib.private_seg_size, 0
	.set _Z21compute_problem_sizesILb0EEvPKiPiS2_S2_iiib.uses_vcc, 1
	.set _Z21compute_problem_sizesILb0EEvPKiPiS2_S2_iiib.uses_flat_scratch, 0
	.set _Z21compute_problem_sizesILb0EEvPKiPiS2_S2_iiib.has_dyn_sized_stack, 0
	.set _Z21compute_problem_sizesILb0EEvPKiPiS2_S2_iiib.has_recursion, 0
	.set _Z21compute_problem_sizesILb0EEvPKiPiS2_S2_iiib.has_indirect_call, 0
	.section	.AMDGPU.csdata,"",@progbits
; Kernel info:
; codeLenInByte = 448
; TotalNumSgprs: 16
; NumVgprs: 6
; ScratchSize: 0
; MemoryBound: 0
; FloatMode: 240
; IeeeMode: 1
; LDSByteSize: 0 bytes/workgroup (compile time only)
; SGPRBlocks: 0
; VGPRBlocks: 0
; NumSGPRsForWavesPerEU: 16
; NumVGPRsForWavesPerEU: 6
; Occupancy: 16
; WaveLimiterHint : 0
; COMPUTE_PGM_RSRC2:SCRATCH_EN: 0
; COMPUTE_PGM_RSRC2:USER_SGPR: 6
; COMPUTE_PGM_RSRC2:TRAP_HANDLER: 0
; COMPUTE_PGM_RSRC2:TGID_X_EN: 1
; COMPUTE_PGM_RSRC2:TGID_Y_EN: 0
; COMPUTE_PGM_RSRC2:TGID_Z_EN: 0
; COMPUTE_PGM_RSRC2:TIDIG_COMP_CNT: 0
	.section	.text._Z41compute_problem_sizes_from_expert_offsetsILb1EEvPKlPiS2_iii,"axG",@progbits,_Z41compute_problem_sizes_from_expert_offsetsILb1EEvPKlPiS2_iii,comdat
	.protected	_Z41compute_problem_sizes_from_expert_offsetsILb1EEvPKlPiS2_iii ; -- Begin function _Z41compute_problem_sizes_from_expert_offsetsILb1EEvPKlPiS2_iii
	.globl	_Z41compute_problem_sizes_from_expert_offsetsILb1EEvPKlPiS2_iii
	.p2align	8
	.type	_Z41compute_problem_sizes_from_expert_offsetsILb1EEvPKlPiS2_iii,@function
_Z41compute_problem_sizes_from_expert_offsetsILb1EEvPKlPiS2_iii: ; @_Z41compute_problem_sizes_from_expert_offsetsILb1EEvPKlPiS2_iii
; %bb.0:
	s_clause 0x1
	s_load_dword s7, s[4:5], 0x34
	s_load_dwordx4 s[0:3], s[4:5], 0x18
	s_waitcnt lgkmcnt(0)
	s_and_b32 s3, s7, 0xffff
	v_mad_u64_u32 v[0:1], null, s6, s3, v[0:1]
	v_cmp_gt_i32_e32 vcc_lo, s0, v0
	s_and_saveexec_b32 s0, vcc_lo
	s_cbranch_execz .LBB5_2
; %bb.1:
	s_load_dwordx4 s[8:11], s[4:5], 0x0
	v_ashrrev_i32_e32 v1, 31, v0
	s_load_dwordx2 s[4:5], s[4:5], 0x10
	s_lshl_b32 s0, s1, 1
	v_lshlrev_b64 v[1:2], 3, v[0:1]
	s_waitcnt lgkmcnt(0)
	v_add_co_u32 v1, vcc_lo, s8, v1
	v_add_co_ci_u32_e64 v2, null, s9, v2, vcc_lo
	global_load_dwordx4 v[1:4], v[1:2], off
	s_waitcnt vmcnt(0)
	v_lshl_add_u32 v4, v0, 1, v0
	v_mov_b32_e32 v2, s2
	v_mov_b32_e32 v0, s0
	v_ashrrev_i32_e32 v5, 31, v4
	v_lshlrev_b64 v[4:5], 2, v[4:5]
	v_add_co_u32 v6, vcc_lo, s10, v4
	v_add_co_ci_u32_e64 v7, null, s11, v5, vcc_lo
	v_sub_nc_u32_e32 v1, v3, v1
	v_add_co_u32 v3, vcc_lo, s4, v4
	v_add_co_ci_u32_e64 v4, null, s5, v5, vcc_lo
	global_store_dwordx3 v[6:7], v[0:2], off
	v_mov_b32_e32 v0, s2
	v_mov_b32_e32 v2, s1
	global_store_dwordx3 v[3:4], v[0:2], off
.LBB5_2:
	s_endpgm
	.section	.rodata,"a",@progbits
	.p2align	6, 0x0
	.amdhsa_kernel _Z41compute_problem_sizes_from_expert_offsetsILb1EEvPKlPiS2_iii
		.amdhsa_group_segment_fixed_size 0
		.amdhsa_private_segment_fixed_size 0
		.amdhsa_kernarg_size 296
		.amdhsa_user_sgpr_count 6
		.amdhsa_user_sgpr_private_segment_buffer 1
		.amdhsa_user_sgpr_dispatch_ptr 0
		.amdhsa_user_sgpr_queue_ptr 0
		.amdhsa_user_sgpr_kernarg_segment_ptr 1
		.amdhsa_user_sgpr_dispatch_id 0
		.amdhsa_user_sgpr_flat_scratch_init 0
		.amdhsa_user_sgpr_private_segment_size 0
		.amdhsa_wavefront_size32 1
		.amdhsa_uses_dynamic_stack 0
		.amdhsa_system_sgpr_private_segment_wavefront_offset 0
		.amdhsa_system_sgpr_workgroup_id_x 1
		.amdhsa_system_sgpr_workgroup_id_y 0
		.amdhsa_system_sgpr_workgroup_id_z 0
		.amdhsa_system_sgpr_workgroup_info 0
		.amdhsa_system_vgpr_workitem_id 0
		.amdhsa_next_free_vgpr 8
		.amdhsa_next_free_sgpr 12
		.amdhsa_reserve_vcc 1
		.amdhsa_reserve_flat_scratch 0
		.amdhsa_float_round_mode_32 0
		.amdhsa_float_round_mode_16_64 0
		.amdhsa_float_denorm_mode_32 3
		.amdhsa_float_denorm_mode_16_64 3
		.amdhsa_dx10_clamp 1
		.amdhsa_ieee_mode 1
		.amdhsa_fp16_overflow 0
		.amdhsa_workgroup_processor_mode 1
		.amdhsa_memory_ordered 1
		.amdhsa_forward_progress 1
		.amdhsa_shared_vgpr_count 0
		.amdhsa_exception_fp_ieee_invalid_op 0
		.amdhsa_exception_fp_denorm_src 0
		.amdhsa_exception_fp_ieee_div_zero 0
		.amdhsa_exception_fp_ieee_overflow 0
		.amdhsa_exception_fp_ieee_underflow 0
		.amdhsa_exception_fp_ieee_inexact 0
		.amdhsa_exception_int_div_zero 0
	.end_amdhsa_kernel
	.section	.text._Z41compute_problem_sizes_from_expert_offsetsILb1EEvPKlPiS2_iii,"axG",@progbits,_Z41compute_problem_sizes_from_expert_offsetsILb1EEvPKlPiS2_iii,comdat
.Lfunc_end5:
	.size	_Z41compute_problem_sizes_from_expert_offsetsILb1EEvPKlPiS2_iii, .Lfunc_end5-_Z41compute_problem_sizes_from_expert_offsetsILb1EEvPKlPiS2_iii
                                        ; -- End function
	.set _Z41compute_problem_sizes_from_expert_offsetsILb1EEvPKlPiS2_iii.num_vgpr, 8
	.set _Z41compute_problem_sizes_from_expert_offsetsILb1EEvPKlPiS2_iii.num_agpr, 0
	.set _Z41compute_problem_sizes_from_expert_offsetsILb1EEvPKlPiS2_iii.numbered_sgpr, 12
	.set _Z41compute_problem_sizes_from_expert_offsetsILb1EEvPKlPiS2_iii.num_named_barrier, 0
	.set _Z41compute_problem_sizes_from_expert_offsetsILb1EEvPKlPiS2_iii.private_seg_size, 0
	.set _Z41compute_problem_sizes_from_expert_offsetsILb1EEvPKlPiS2_iii.uses_vcc, 1
	.set _Z41compute_problem_sizes_from_expert_offsetsILb1EEvPKlPiS2_iii.uses_flat_scratch, 0
	.set _Z41compute_problem_sizes_from_expert_offsetsILb1EEvPKlPiS2_iii.has_dyn_sized_stack, 0
	.set _Z41compute_problem_sizes_from_expert_offsetsILb1EEvPKlPiS2_iii.has_recursion, 0
	.set _Z41compute_problem_sizes_from_expert_offsetsILb1EEvPKlPiS2_iii.has_indirect_call, 0
	.section	.AMDGPU.csdata,"",@progbits
; Kernel info:
; codeLenInByte = 208
; TotalNumSgprs: 14
; NumVgprs: 8
; ScratchSize: 0
; MemoryBound: 0
; FloatMode: 240
; IeeeMode: 1
; LDSByteSize: 0 bytes/workgroup (compile time only)
; SGPRBlocks: 0
; VGPRBlocks: 0
; NumSGPRsForWavesPerEU: 14
; NumVGPRsForWavesPerEU: 8
; Occupancy: 16
; WaveLimiterHint : 0
; COMPUTE_PGM_RSRC2:SCRATCH_EN: 0
; COMPUTE_PGM_RSRC2:USER_SGPR: 6
; COMPUTE_PGM_RSRC2:TRAP_HANDLER: 0
; COMPUTE_PGM_RSRC2:TGID_X_EN: 1
; COMPUTE_PGM_RSRC2:TGID_Y_EN: 0
; COMPUTE_PGM_RSRC2:TGID_Z_EN: 0
; COMPUTE_PGM_RSRC2:TIDIG_COMP_CNT: 0
	.section	.text._Z41compute_problem_sizes_from_expert_offsetsILb0EEvPKlPiS2_iii,"axG",@progbits,_Z41compute_problem_sizes_from_expert_offsetsILb0EEvPKlPiS2_iii,comdat
	.protected	_Z41compute_problem_sizes_from_expert_offsetsILb0EEvPKlPiS2_iii ; -- Begin function _Z41compute_problem_sizes_from_expert_offsetsILb0EEvPKlPiS2_iii
	.globl	_Z41compute_problem_sizes_from_expert_offsetsILb0EEvPKlPiS2_iii
	.p2align	8
	.type	_Z41compute_problem_sizes_from_expert_offsetsILb0EEvPKlPiS2_iii,@function
_Z41compute_problem_sizes_from_expert_offsetsILb0EEvPKlPiS2_iii: ; @_Z41compute_problem_sizes_from_expert_offsetsILb0EEvPKlPiS2_iii
; %bb.0:
	s_clause 0x1
	s_load_dword s7, s[4:5], 0x34
	s_load_dwordx4 s[0:3], s[4:5], 0x18
	s_waitcnt lgkmcnt(0)
	s_and_b32 s3, s7, 0xffff
	v_mad_u64_u32 v[0:1], null, s6, s3, v[0:1]
	v_cmp_gt_i32_e32 vcc_lo, s0, v0
	s_and_saveexec_b32 s0, vcc_lo
	s_cbranch_execz .LBB6_2
; %bb.1:
	s_load_dwordx4 s[8:11], s[4:5], 0x0
	v_ashrrev_i32_e32 v1, 31, v0
	s_load_dwordx2 s[4:5], s[4:5], 0x10
	s_lshl_b32 s0, s1, 1
	v_lshlrev_b64 v[1:2], 3, v[0:1]
	s_waitcnt lgkmcnt(0)
	v_add_co_u32 v1, vcc_lo, s8, v1
	v_add_co_ci_u32_e64 v2, null, s9, v2, vcc_lo
	global_load_dwordx4 v[1:4], v[1:2], off
	s_waitcnt vmcnt(0)
	v_lshl_add_u32 v4, v0, 1, v0
	v_ashrrev_i32_e32 v5, 31, v4
	v_lshlrev_b64 v[6:7], 2, v[4:5]
	v_mov_b32_e32 v5, s2
	v_mov_b32_e32 v4, s0
	v_add_co_u32 v8, vcc_lo, s10, v6
	v_add_co_ci_u32_e64 v9, null, s11, v7, vcc_lo
	v_add_co_u32 v0, vcc_lo, s4, v6
	v_sub_nc_u32_e32 v3, v3, v1
	v_add_co_ci_u32_e64 v1, null, s5, v7, vcc_lo
	global_store_dwordx3 v[8:9], v[3:5], off
	v_mov_b32_e32 v4, s2
	v_mov_b32_e32 v5, s1
	global_store_dwordx3 v[0:1], v[3:5], off
.LBB6_2:
	s_endpgm
	.section	.rodata,"a",@progbits
	.p2align	6, 0x0
	.amdhsa_kernel _Z41compute_problem_sizes_from_expert_offsetsILb0EEvPKlPiS2_iii
		.amdhsa_group_segment_fixed_size 0
		.amdhsa_private_segment_fixed_size 0
		.amdhsa_kernarg_size 296
		.amdhsa_user_sgpr_count 6
		.amdhsa_user_sgpr_private_segment_buffer 1
		.amdhsa_user_sgpr_dispatch_ptr 0
		.amdhsa_user_sgpr_queue_ptr 0
		.amdhsa_user_sgpr_kernarg_segment_ptr 1
		.amdhsa_user_sgpr_dispatch_id 0
		.amdhsa_user_sgpr_flat_scratch_init 0
		.amdhsa_user_sgpr_private_segment_size 0
		.amdhsa_wavefront_size32 1
		.amdhsa_uses_dynamic_stack 0
		.amdhsa_system_sgpr_private_segment_wavefront_offset 0
		.amdhsa_system_sgpr_workgroup_id_x 1
		.amdhsa_system_sgpr_workgroup_id_y 0
		.amdhsa_system_sgpr_workgroup_id_z 0
		.amdhsa_system_sgpr_workgroup_info 0
		.amdhsa_system_vgpr_workitem_id 0
		.amdhsa_next_free_vgpr 10
		.amdhsa_next_free_sgpr 12
		.amdhsa_reserve_vcc 1
		.amdhsa_reserve_flat_scratch 0
		.amdhsa_float_round_mode_32 0
		.amdhsa_float_round_mode_16_64 0
		.amdhsa_float_denorm_mode_32 3
		.amdhsa_float_denorm_mode_16_64 3
		.amdhsa_dx10_clamp 1
		.amdhsa_ieee_mode 1
		.amdhsa_fp16_overflow 0
		.amdhsa_workgroup_processor_mode 1
		.amdhsa_memory_ordered 1
		.amdhsa_forward_progress 1
		.amdhsa_shared_vgpr_count 0
		.amdhsa_exception_fp_ieee_invalid_op 0
		.amdhsa_exception_fp_denorm_src 0
		.amdhsa_exception_fp_ieee_div_zero 0
		.amdhsa_exception_fp_ieee_overflow 0
		.amdhsa_exception_fp_ieee_underflow 0
		.amdhsa_exception_fp_ieee_inexact 0
		.amdhsa_exception_int_div_zero 0
	.end_amdhsa_kernel
	.section	.text._Z41compute_problem_sizes_from_expert_offsetsILb0EEvPKlPiS2_iii,"axG",@progbits,_Z41compute_problem_sizes_from_expert_offsetsILb0EEvPKlPiS2_iii,comdat
.Lfunc_end6:
	.size	_Z41compute_problem_sizes_from_expert_offsetsILb0EEvPKlPiS2_iii, .Lfunc_end6-_Z41compute_problem_sizes_from_expert_offsetsILb0EEvPKlPiS2_iii
                                        ; -- End function
	.set _Z41compute_problem_sizes_from_expert_offsetsILb0EEvPKlPiS2_iii.num_vgpr, 10
	.set _Z41compute_problem_sizes_from_expert_offsetsILb0EEvPKlPiS2_iii.num_agpr, 0
	.set _Z41compute_problem_sizes_from_expert_offsetsILb0EEvPKlPiS2_iii.numbered_sgpr, 12
	.set _Z41compute_problem_sizes_from_expert_offsetsILb0EEvPKlPiS2_iii.num_named_barrier, 0
	.set _Z41compute_problem_sizes_from_expert_offsetsILb0EEvPKlPiS2_iii.private_seg_size, 0
	.set _Z41compute_problem_sizes_from_expert_offsetsILb0EEvPKlPiS2_iii.uses_vcc, 1
	.set _Z41compute_problem_sizes_from_expert_offsetsILb0EEvPKlPiS2_iii.uses_flat_scratch, 0
	.set _Z41compute_problem_sizes_from_expert_offsetsILb0EEvPKlPiS2_iii.has_dyn_sized_stack, 0
	.set _Z41compute_problem_sizes_from_expert_offsetsILb0EEvPKlPiS2_iii.has_recursion, 0
	.set _Z41compute_problem_sizes_from_expert_offsetsILb0EEvPKlPiS2_iii.has_indirect_call, 0
	.section	.AMDGPU.csdata,"",@progbits
; Kernel info:
; codeLenInByte = 208
; TotalNumSgprs: 14
; NumVgprs: 10
; ScratchSize: 0
; MemoryBound: 0
; FloatMode: 240
; IeeeMode: 1
; LDSByteSize: 0 bytes/workgroup (compile time only)
; SGPRBlocks: 0
; VGPRBlocks: 1
; NumSGPRsForWavesPerEU: 14
; NumVGPRsForWavesPerEU: 10
; Occupancy: 16
; WaveLimiterHint : 0
; COMPUTE_PGM_RSRC2:SCRATCH_EN: 0
; COMPUTE_PGM_RSRC2:USER_SGPR: 6
; COMPUTE_PGM_RSRC2:TRAP_HANDLER: 0
; COMPUTE_PGM_RSRC2:TGID_X_EN: 1
; COMPUTE_PGM_RSRC2:TGID_Y_EN: 0
; COMPUTE_PGM_RSRC2:TGID_Z_EN: 0
; COMPUTE_PGM_RSRC2:TIDIG_COMP_CNT: 0
	.section	.text._Z24compute_batched_moe_dataILb0EEvPiS0_S0_PKiiii,"axG",@progbits,_Z24compute_batched_moe_dataILb0EEvPiS0_S0_PKiiii,comdat
	.protected	_Z24compute_batched_moe_dataILb0EEvPiS0_S0_PKiiii ; -- Begin function _Z24compute_batched_moe_dataILb0EEvPiS0_S0_PKiiii
	.globl	_Z24compute_batched_moe_dataILb0EEvPiS0_S0_PKiiii
	.p2align	8
	.type	_Z24compute_batched_moe_dataILb0EEvPiS0_S0_PKiiii,@function
_Z24compute_batched_moe_dataILb0EEvPiS0_S0_PKiiii: ; @_Z24compute_batched_moe_dataILb0EEvPiS0_S0_PKiiii
; %bb.0:
	s_load_dwordx8 s[8:15], s[4:5], 0x10
	v_lshlrev_b32_e32 v4, 2, v0
	s_load_dwordx4 s[0:3], s[4:5], 0x0
	v_mul_u32_u24_e32 v2, 3, v0
	v_lshlrev_b32_e32 v5, 2, v2
	s_waitcnt lgkmcnt(0)
	global_load_dword v1, v4, s[10:11]
	v_mul_lo_u32 v0, s12, v0
	s_lshl_b32 s4, s13, 1
	v_mov_b32_e32 v3, s14
	v_mov_b32_e32 v2, s4
	global_store_dword v4, v0, s[0:1]
	s_waitcnt vmcnt(0)
	global_store_dwordx3 v5, v[1:3], s[2:3]
	v_mov_b32_e32 v2, s14
	v_mov_b32_e32 v3, s13
	global_store_dwordx3 v5, v[1:3], s[8:9]
	s_endpgm
	.section	.rodata,"a",@progbits
	.p2align	6, 0x0
	.amdhsa_kernel _Z24compute_batched_moe_dataILb0EEvPiS0_S0_PKiiii
		.amdhsa_group_segment_fixed_size 0
		.amdhsa_private_segment_fixed_size 0
		.amdhsa_kernarg_size 44
		.amdhsa_user_sgpr_count 6
		.amdhsa_user_sgpr_private_segment_buffer 1
		.amdhsa_user_sgpr_dispatch_ptr 0
		.amdhsa_user_sgpr_queue_ptr 0
		.amdhsa_user_sgpr_kernarg_segment_ptr 1
		.amdhsa_user_sgpr_dispatch_id 0
		.amdhsa_user_sgpr_flat_scratch_init 0
		.amdhsa_user_sgpr_private_segment_size 0
		.amdhsa_wavefront_size32 1
		.amdhsa_uses_dynamic_stack 0
		.amdhsa_system_sgpr_private_segment_wavefront_offset 0
		.amdhsa_system_sgpr_workgroup_id_x 1
		.amdhsa_system_sgpr_workgroup_id_y 0
		.amdhsa_system_sgpr_workgroup_id_z 0
		.amdhsa_system_sgpr_workgroup_info 0
		.amdhsa_system_vgpr_workitem_id 0
		.amdhsa_next_free_vgpr 6
		.amdhsa_next_free_sgpr 16
		.amdhsa_reserve_vcc 0
		.amdhsa_reserve_flat_scratch 0
		.amdhsa_float_round_mode_32 0
		.amdhsa_float_round_mode_16_64 0
		.amdhsa_float_denorm_mode_32 3
		.amdhsa_float_denorm_mode_16_64 3
		.amdhsa_dx10_clamp 1
		.amdhsa_ieee_mode 1
		.amdhsa_fp16_overflow 0
		.amdhsa_workgroup_processor_mode 1
		.amdhsa_memory_ordered 1
		.amdhsa_forward_progress 1
		.amdhsa_shared_vgpr_count 0
		.amdhsa_exception_fp_ieee_invalid_op 0
		.amdhsa_exception_fp_denorm_src 0
		.amdhsa_exception_fp_ieee_div_zero 0
		.amdhsa_exception_fp_ieee_overflow 0
		.amdhsa_exception_fp_ieee_underflow 0
		.amdhsa_exception_fp_ieee_inexact 0
		.amdhsa_exception_int_div_zero 0
	.end_amdhsa_kernel
	.section	.text._Z24compute_batched_moe_dataILb0EEvPiS0_S0_PKiiii,"axG",@progbits,_Z24compute_batched_moe_dataILb0EEvPiS0_S0_PKiiii,comdat
.Lfunc_end7:
	.size	_Z24compute_batched_moe_dataILb0EEvPiS0_S0_PKiiii, .Lfunc_end7-_Z24compute_batched_moe_dataILb0EEvPiS0_S0_PKiiii
                                        ; -- End function
	.set _Z24compute_batched_moe_dataILb0EEvPiS0_S0_PKiiii.num_vgpr, 6
	.set _Z24compute_batched_moe_dataILb0EEvPiS0_S0_PKiiii.num_agpr, 0
	.set _Z24compute_batched_moe_dataILb0EEvPiS0_S0_PKiiii.numbered_sgpr, 16
	.set _Z24compute_batched_moe_dataILb0EEvPiS0_S0_PKiiii.num_named_barrier, 0
	.set _Z24compute_batched_moe_dataILb0EEvPiS0_S0_PKiiii.private_seg_size, 0
	.set _Z24compute_batched_moe_dataILb0EEvPiS0_S0_PKiiii.uses_vcc, 0
	.set _Z24compute_batched_moe_dataILb0EEvPiS0_S0_PKiiii.uses_flat_scratch, 0
	.set _Z24compute_batched_moe_dataILb0EEvPiS0_S0_PKiiii.has_dyn_sized_stack, 0
	.set _Z24compute_batched_moe_dataILb0EEvPiS0_S0_PKiiii.has_recursion, 0
	.set _Z24compute_batched_moe_dataILb0EEvPiS0_S0_PKiiii.has_indirect_call, 0
	.section	.AMDGPU.csdata,"",@progbits
; Kernel info:
; codeLenInByte = 100
; TotalNumSgprs: 16
; NumVgprs: 6
; ScratchSize: 0
; MemoryBound: 0
; FloatMode: 240
; IeeeMode: 1
; LDSByteSize: 0 bytes/workgroup (compile time only)
; SGPRBlocks: 0
; VGPRBlocks: 0
; NumSGPRsForWavesPerEU: 16
; NumVGPRsForWavesPerEU: 6
; Occupancy: 16
; WaveLimiterHint : 0
; COMPUTE_PGM_RSRC2:SCRATCH_EN: 0
; COMPUTE_PGM_RSRC2:USER_SGPR: 6
; COMPUTE_PGM_RSRC2:TRAP_HANDLER: 0
; COMPUTE_PGM_RSRC2:TGID_X_EN: 1
; COMPUTE_PGM_RSRC2:TGID_Y_EN: 0
; COMPUTE_PGM_RSRC2:TGID_Z_EN: 0
; COMPUTE_PGM_RSRC2:TIDIG_COMP_CNT: 0
	.section	.text._Z24compute_batched_moe_dataILb1EEvPiS0_S0_PKiiii,"axG",@progbits,_Z24compute_batched_moe_dataILb1EEvPiS0_S0_PKiiii,comdat
	.protected	_Z24compute_batched_moe_dataILb1EEvPiS0_S0_PKiiii ; -- Begin function _Z24compute_batched_moe_dataILb1EEvPiS0_S0_PKiiii
	.globl	_Z24compute_batched_moe_dataILb1EEvPiS0_S0_PKiiii
	.p2align	8
	.type	_Z24compute_batched_moe_dataILb1EEvPiS0_S0_PKiiii,@function
_Z24compute_batched_moe_dataILb1EEvPiS0_S0_PKiiii: ; @_Z24compute_batched_moe_dataILb1EEvPiS0_S0_PKiiii
; %bb.0:
	s_load_dwordx8 s[8:15], s[4:5], 0x10
	v_lshlrev_b32_e32 v3, 2, v0
	s_load_dwordx4 s[0:3], s[4:5], 0x0
	v_mul_u32_u24_e32 v2, 3, v0
	v_lshlrev_b32_e32 v5, 2, v2
	s_waitcnt lgkmcnt(0)
	global_load_dword v1, v3, s[10:11]
	v_mul_lo_u32 v4, s12, v0
	s_lshl_b32 s4, s13, 1
	v_mov_b32_e32 v2, s14
	v_mov_b32_e32 v0, s4
	global_store_dword v3, v4, s[0:1]
	s_waitcnt vmcnt(0)
	global_store_dwordx3 v5, v[0:2], s[2:3]
	v_mov_b32_e32 v0, s14
	v_mov_b32_e32 v2, s13
	global_store_dwordx3 v5, v[0:2], s[8:9]
	s_endpgm
	.section	.rodata,"a",@progbits
	.p2align	6, 0x0
	.amdhsa_kernel _Z24compute_batched_moe_dataILb1EEvPiS0_S0_PKiiii
		.amdhsa_group_segment_fixed_size 0
		.amdhsa_private_segment_fixed_size 0
		.amdhsa_kernarg_size 44
		.amdhsa_user_sgpr_count 6
		.amdhsa_user_sgpr_private_segment_buffer 1
		.amdhsa_user_sgpr_dispatch_ptr 0
		.amdhsa_user_sgpr_queue_ptr 0
		.amdhsa_user_sgpr_kernarg_segment_ptr 1
		.amdhsa_user_sgpr_dispatch_id 0
		.amdhsa_user_sgpr_flat_scratch_init 0
		.amdhsa_user_sgpr_private_segment_size 0
		.amdhsa_wavefront_size32 1
		.amdhsa_uses_dynamic_stack 0
		.amdhsa_system_sgpr_private_segment_wavefront_offset 0
		.amdhsa_system_sgpr_workgroup_id_x 1
		.amdhsa_system_sgpr_workgroup_id_y 0
		.amdhsa_system_sgpr_workgroup_id_z 0
		.amdhsa_system_sgpr_workgroup_info 0
		.amdhsa_system_vgpr_workitem_id 0
		.amdhsa_next_free_vgpr 6
		.amdhsa_next_free_sgpr 16
		.amdhsa_reserve_vcc 0
		.amdhsa_reserve_flat_scratch 0
		.amdhsa_float_round_mode_32 0
		.amdhsa_float_round_mode_16_64 0
		.amdhsa_float_denorm_mode_32 3
		.amdhsa_float_denorm_mode_16_64 3
		.amdhsa_dx10_clamp 1
		.amdhsa_ieee_mode 1
		.amdhsa_fp16_overflow 0
		.amdhsa_workgroup_processor_mode 1
		.amdhsa_memory_ordered 1
		.amdhsa_forward_progress 1
		.amdhsa_shared_vgpr_count 0
		.amdhsa_exception_fp_ieee_invalid_op 0
		.amdhsa_exception_fp_denorm_src 0
		.amdhsa_exception_fp_ieee_div_zero 0
		.amdhsa_exception_fp_ieee_overflow 0
		.amdhsa_exception_fp_ieee_underflow 0
		.amdhsa_exception_fp_ieee_inexact 0
		.amdhsa_exception_int_div_zero 0
	.end_amdhsa_kernel
	.section	.text._Z24compute_batched_moe_dataILb1EEvPiS0_S0_PKiiii,"axG",@progbits,_Z24compute_batched_moe_dataILb1EEvPiS0_S0_PKiiii,comdat
.Lfunc_end8:
	.size	_Z24compute_batched_moe_dataILb1EEvPiS0_S0_PKiiii, .Lfunc_end8-_Z24compute_batched_moe_dataILb1EEvPiS0_S0_PKiiii
                                        ; -- End function
	.set _Z24compute_batched_moe_dataILb1EEvPiS0_S0_PKiiii.num_vgpr, 6
	.set _Z24compute_batched_moe_dataILb1EEvPiS0_S0_PKiiii.num_agpr, 0
	.set _Z24compute_batched_moe_dataILb1EEvPiS0_S0_PKiiii.numbered_sgpr, 16
	.set _Z24compute_batched_moe_dataILb1EEvPiS0_S0_PKiiii.num_named_barrier, 0
	.set _Z24compute_batched_moe_dataILb1EEvPiS0_S0_PKiiii.private_seg_size, 0
	.set _Z24compute_batched_moe_dataILb1EEvPiS0_S0_PKiiii.uses_vcc, 0
	.set _Z24compute_batched_moe_dataILb1EEvPiS0_S0_PKiiii.uses_flat_scratch, 0
	.set _Z24compute_batched_moe_dataILb1EEvPiS0_S0_PKiiii.has_dyn_sized_stack, 0
	.set _Z24compute_batched_moe_dataILb1EEvPiS0_S0_PKiiii.has_recursion, 0
	.set _Z24compute_batched_moe_dataILb1EEvPiS0_S0_PKiiii.has_indirect_call, 0
	.section	.AMDGPU.csdata,"",@progbits
; Kernel info:
; codeLenInByte = 100
; TotalNumSgprs: 16
; NumVgprs: 6
; ScratchSize: 0
; MemoryBound: 0
; FloatMode: 240
; IeeeMode: 1
; LDSByteSize: 0 bytes/workgroup (compile time only)
; SGPRBlocks: 0
; VGPRBlocks: 0
; NumSGPRsForWavesPerEU: 16
; NumVGPRsForWavesPerEU: 6
; Occupancy: 16
; WaveLimiterHint : 0
; COMPUTE_PGM_RSRC2:SCRATCH_EN: 0
; COMPUTE_PGM_RSRC2:USER_SGPR: 6
; COMPUTE_PGM_RSRC2:TRAP_HANDLER: 0
; COMPUTE_PGM_RSRC2:TGID_X_EN: 1
; COMPUTE_PGM_RSRC2:TGID_Y_EN: 0
; COMPUTE_PGM_RSRC2:TGID_Z_EN: 0
; COMPUTE_PGM_RSRC2:TIDIG_COMP_CNT: 0
	.text
	.p2alignl 6, 3214868480
	.fill 48, 4, 3214868480
	.section	.AMDGPU.gpr_maximums,"",@progbits
	.set amdgpu.max_num_vgpr, 0
	.set amdgpu.max_num_agpr, 0
	.set amdgpu.max_num_sgpr, 0
	.text
	.type	__hip_cuid_6f4af83055f0ca4e,@object ; @__hip_cuid_6f4af83055f0ca4e
	.section	.bss,"aw",@nobits
	.globl	__hip_cuid_6f4af83055f0ca4e
__hip_cuid_6f4af83055f0ca4e:
	.byte	0                               ; 0x0
	.size	__hip_cuid_6f4af83055f0ca4e, 1

	.ident	"AMD clang version 22.0.0git (https://github.com/RadeonOpenCompute/llvm-project roc-7.2.4 26084 f58b06dce1f9c15707c5f808fd002e18c2accf7e)"
	.section	".note.GNU-stack","",@progbits
	.addrsig
	.addrsig_sym __hip_cuid_6f4af83055f0ca4e
	.amdgpu_metadata
---
amdhsa.kernels:
  - .args:
      - .actual_access:  read_only
        .address_space:  global
        .offset:         0
        .size:           8
        .value_kind:     global_buffer
      - .address_space:  global
        .offset:         8
        .size:           8
        .value_kind:     global_buffer
      - .address_space:  global
        .offset:         16
        .size:           8
        .value_kind:     global_buffer
      - .offset:         24
        .size:           4
        .value_kind:     by_value
      - .offset:         28
        .size:           1
        .value_kind:     by_value
    .group_segment_fixed_size: 0
    .kernarg_segment_align: 8
    .kernarg_segment_size: 32
    .language:       OpenCL C
    .language_version:
      - 2
      - 0
    .max_flat_workgroup_size: 1024
    .name:           _Z22compute_expert_offsetsPKiPiS1_ib
    .private_segment_fixed_size: 0
    .sgpr_count:     9
    .sgpr_spill_count: 0
    .symbol:         _Z22compute_expert_offsetsPKiPiS1_ib.kd
    .uniform_work_group_size: 1
    .uses_dynamic_stack: false
    .vgpr_count:     3
    .vgpr_spill_count: 0
    .wavefront_size: 32
    .workgroup_processor_mode: 1
  - .args:
      - .actual_access:  read_only
        .address_space:  global
        .offset:         0
        .size:           8
        .value_kind:     global_buffer
      - .address_space:  global
        .offset:         8
        .size:           8
        .value_kind:     global_buffer
      - .address_space:  global
        .offset:         16
        .size:           8
        .value_kind:     global_buffer
      - .address_space:  global
        .offset:         24
        .size:           8
        .value_kind:     global_buffer
      - .offset:         32
        .size:           4
        .value_kind:     by_value
      - .offset:         36
        .size:           1
        .value_kind:     by_value
    .group_segment_fixed_size: 0
    .kernarg_segment_align: 8
    .kernarg_segment_size: 40
    .language:       OpenCL C
    .language_version:
      - 2
      - 0
    .max_flat_workgroup_size: 1024
    .name:           _Z33compute_expert_blockscale_offsetsPKiPiS1_S1_ib
    .private_segment_fixed_size: 0
    .sgpr_count:     13
    .sgpr_spill_count: 0
    .symbol:         _Z33compute_expert_blockscale_offsetsPKiPiS1_S1_ib.kd
    .uniform_work_group_size: 1
    .uses_dynamic_stack: false
    .vgpr_count:     3
    .vgpr_spill_count: 0
    .wavefront_size: 32
    .workgroup_processor_mode: 1
  - .args:
      - .actual_access:  read_only
        .address_space:  global
        .offset:         0
        .size:           8
        .value_kind:     global_buffer
      - .actual_access:  read_only
        .address_space:  global
        .offset:         8
        .size:           8
        .value_kind:     global_buffer
      - .address_space:  global
        .offset:         16
        .size:           8
        .value_kind:     global_buffer
      - .address_space:  global
        .offset:         24
        .size:           8
        .value_kind:     global_buffer
      - .address_space:  global
        .offset:         32
        .size:           8
        .value_kind:     global_buffer
      - .offset:         40
        .size:           4
        .value_kind:     by_value
      - .offset:         44
        .size:           4
        .value_kind:     by_value
      - .offset:         48
        .size:           4
        .value_kind:     hidden_block_count_x
      - .offset:         52
        .size:           4
        .value_kind:     hidden_block_count_y
      - .offset:         56
        .size:           4
        .value_kind:     hidden_block_count_z
      - .offset:         60
        .size:           2
        .value_kind:     hidden_group_size_x
      - .offset:         62
        .size:           2
        .value_kind:     hidden_group_size_y
      - .offset:         64
        .size:           2
        .value_kind:     hidden_group_size_z
      - .offset:         66
        .size:           2
        .value_kind:     hidden_remainder_x
      - .offset:         68
        .size:           2
        .value_kind:     hidden_remainder_y
      - .offset:         70
        .size:           2
        .value_kind:     hidden_remainder_z
      - .offset:         88
        .size:           8
        .value_kind:     hidden_global_offset_x
      - .offset:         96
        .size:           8
        .value_kind:     hidden_global_offset_y
      - .offset:         104
        .size:           8
        .value_kind:     hidden_global_offset_z
      - .offset:         112
        .size:           2
        .value_kind:     hidden_grid_dims
    .group_segment_fixed_size: 0
    .kernarg_segment_align: 8
    .kernarg_segment_size: 304
    .language:       OpenCL C
    .language_version:
      - 2
      - 0
    .max_flat_workgroup_size: 1024
    .name:           _Z17compute_arg_sortsPKiS0_PiS1_S1_ii
    .private_segment_fixed_size: 0
    .sgpr_count:     21
    .sgpr_spill_count: 0
    .symbol:         _Z17compute_arg_sortsPKiS0_PiS1_S1_ii.kd
    .uniform_work_group_size: 1
    .uses_dynamic_stack: false
    .vgpr_count:     11
    .vgpr_spill_count: 0
    .wavefront_size: 32
    .workgroup_processor_mode: 1
  - .args:
      - .actual_access:  read_only
        .address_space:  global
        .offset:         0
        .size:           8
        .value_kind:     global_buffer
      - .address_space:  global
        .offset:         8
        .size:           8
        .value_kind:     global_buffer
      - .address_space:  global
        .offset:         16
        .size:           8
        .value_kind:     global_buffer
      - .address_space:  global
        .offset:         24
        .size:           8
        .value_kind:     global_buffer
      - .offset:         32
        .size:           4
        .value_kind:     by_value
      - .offset:         36
        .size:           4
        .value_kind:     by_value
      - .offset:         40
        .size:           4
        .value_kind:     by_value
      - .offset:         44
        .size:           1
        .value_kind:     by_value
    .group_segment_fixed_size: 0
    .kernarg_segment_align: 8
    .kernarg_segment_size: 48
    .language:       OpenCL C
    .language_version:
      - 2
      - 0
    .max_flat_workgroup_size: 1024
    .name:           _Z21compute_problem_sizesILb1EEvPKiPiS2_S2_iiib
    .private_segment_fixed_size: 0
    .sgpr_count:     16
    .sgpr_spill_count: 0
    .symbol:         _Z21compute_problem_sizesILb1EEvPKiPiS2_S2_iiib.kd
    .uniform_work_group_size: 1
    .uses_dynamic_stack: false
    .vgpr_count:     6
    .vgpr_spill_count: 0
    .wavefront_size: 32
    .workgroup_processor_mode: 1
  - .args:
      - .actual_access:  read_only
        .address_space:  global
        .offset:         0
        .size:           8
        .value_kind:     global_buffer
      - .address_space:  global
        .offset:         8
        .size:           8
        .value_kind:     global_buffer
      - .address_space:  global
        .offset:         16
        .size:           8
        .value_kind:     global_buffer
      - .address_space:  global
        .offset:         24
        .size:           8
        .value_kind:     global_buffer
      - .offset:         32
        .size:           4
        .value_kind:     by_value
      - .offset:         36
        .size:           4
        .value_kind:     by_value
      - .offset:         40
        .size:           4
        .value_kind:     by_value
      - .offset:         44
        .size:           1
        .value_kind:     by_value
    .group_segment_fixed_size: 0
    .kernarg_segment_align: 8
    .kernarg_segment_size: 48
    .language:       OpenCL C
    .language_version:
      - 2
      - 0
    .max_flat_workgroup_size: 1024
    .name:           _Z21compute_problem_sizesILb0EEvPKiPiS2_S2_iiib
    .private_segment_fixed_size: 0
    .sgpr_count:     16
    .sgpr_spill_count: 0
    .symbol:         _Z21compute_problem_sizesILb0EEvPKiPiS2_S2_iiib.kd
    .uniform_work_group_size: 1
    .uses_dynamic_stack: false
    .vgpr_count:     6
    .vgpr_spill_count: 0
    .wavefront_size: 32
    .workgroup_processor_mode: 1
  - .args:
      - .actual_access:  read_only
        .address_space:  global
        .offset:         0
        .size:           8
        .value_kind:     global_buffer
      - .actual_access:  write_only
        .address_space:  global
        .offset:         8
        .size:           8
        .value_kind:     global_buffer
      - .actual_access:  write_only
        .address_space:  global
        .offset:         16
        .size:           8
        .value_kind:     global_buffer
      - .offset:         24
        .size:           4
        .value_kind:     by_value
      - .offset:         28
        .size:           4
        .value_kind:     by_value
      - .offset:         32
        .size:           4
        .value_kind:     by_value
      - .offset:         40
        .size:           4
        .value_kind:     hidden_block_count_x
      - .offset:         44
        .size:           4
        .value_kind:     hidden_block_count_y
      - .offset:         48
        .size:           4
        .value_kind:     hidden_block_count_z
      - .offset:         52
        .size:           2
        .value_kind:     hidden_group_size_x
      - .offset:         54
        .size:           2
        .value_kind:     hidden_group_size_y
      - .offset:         56
        .size:           2
        .value_kind:     hidden_group_size_z
      - .offset:         58
        .size:           2
        .value_kind:     hidden_remainder_x
      - .offset:         60
        .size:           2
        .value_kind:     hidden_remainder_y
      - .offset:         62
        .size:           2
        .value_kind:     hidden_remainder_z
      - .offset:         80
        .size:           8
        .value_kind:     hidden_global_offset_x
      - .offset:         88
        .size:           8
        .value_kind:     hidden_global_offset_y
      - .offset:         96
        .size:           8
        .value_kind:     hidden_global_offset_z
      - .offset:         104
        .size:           2
        .value_kind:     hidden_grid_dims
    .group_segment_fixed_size: 0
    .kernarg_segment_align: 8
    .kernarg_segment_size: 296
    .language:       OpenCL C
    .language_version:
      - 2
      - 0
    .max_flat_workgroup_size: 1024
    .name:           _Z41compute_problem_sizes_from_expert_offsetsILb1EEvPKlPiS2_iii
    .private_segment_fixed_size: 0
    .sgpr_count:     14
    .sgpr_spill_count: 0
    .symbol:         _Z41compute_problem_sizes_from_expert_offsetsILb1EEvPKlPiS2_iii.kd
    .uniform_work_group_size: 1
    .uses_dynamic_stack: false
    .vgpr_count:     8
    .vgpr_spill_count: 0
    .wavefront_size: 32
    .workgroup_processor_mode: 1
  - .args:
      - .actual_access:  read_only
        .address_space:  global
        .offset:         0
        .size:           8
        .value_kind:     global_buffer
      - .actual_access:  write_only
        .address_space:  global
        .offset:         8
        .size:           8
        .value_kind:     global_buffer
      - .actual_access:  write_only
        .address_space:  global
        .offset:         16
        .size:           8
        .value_kind:     global_buffer
      - .offset:         24
        .size:           4
        .value_kind:     by_value
      - .offset:         28
        .size:           4
        .value_kind:     by_value
      - .offset:         32
        .size:           4
        .value_kind:     by_value
      - .offset:         40
        .size:           4
        .value_kind:     hidden_block_count_x
      - .offset:         44
        .size:           4
        .value_kind:     hidden_block_count_y
      - .offset:         48
        .size:           4
        .value_kind:     hidden_block_count_z
      - .offset:         52
        .size:           2
        .value_kind:     hidden_group_size_x
      - .offset:         54
        .size:           2
        .value_kind:     hidden_group_size_y
      - .offset:         56
        .size:           2
        .value_kind:     hidden_group_size_z
      - .offset:         58
        .size:           2
        .value_kind:     hidden_remainder_x
      - .offset:         60
        .size:           2
        .value_kind:     hidden_remainder_y
      - .offset:         62
        .size:           2
        .value_kind:     hidden_remainder_z
      - .offset:         80
        .size:           8
        .value_kind:     hidden_global_offset_x
      - .offset:         88
        .size:           8
        .value_kind:     hidden_global_offset_y
      - .offset:         96
        .size:           8
        .value_kind:     hidden_global_offset_z
      - .offset:         104
        .size:           2
        .value_kind:     hidden_grid_dims
    .group_segment_fixed_size: 0
    .kernarg_segment_align: 8
    .kernarg_segment_size: 296
    .language:       OpenCL C
    .language_version:
      - 2
      - 0
    .max_flat_workgroup_size: 1024
    .name:           _Z41compute_problem_sizes_from_expert_offsetsILb0EEvPKlPiS2_iii
    .private_segment_fixed_size: 0
    .sgpr_count:     14
    .sgpr_spill_count: 0
    .symbol:         _Z41compute_problem_sizes_from_expert_offsetsILb0EEvPKlPiS2_iii.kd
    .uniform_work_group_size: 1
    .uses_dynamic_stack: false
    .vgpr_count:     10
    .vgpr_spill_count: 0
    .wavefront_size: 32
    .workgroup_processor_mode: 1
  - .args:
      - .address_space:  global
        .offset:         0
        .size:           8
        .value_kind:     global_buffer
      - .address_space:  global
        .offset:         8
        .size:           8
        .value_kind:     global_buffer
      - .address_space:  global
        .offset:         16
        .size:           8
        .value_kind:     global_buffer
      - .actual_access:  read_only
        .address_space:  global
        .offset:         24
        .size:           8
        .value_kind:     global_buffer
      - .offset:         32
        .size:           4
        .value_kind:     by_value
      - .offset:         36
        .size:           4
        .value_kind:     by_value
      - .offset:         40
        .size:           4
        .value_kind:     by_value
    .group_segment_fixed_size: 0
    .kernarg_segment_align: 8
    .kernarg_segment_size: 44
    .language:       OpenCL C
    .language_version:
      - 2
      - 0
    .max_flat_workgroup_size: 1024
    .name:           _Z24compute_batched_moe_dataILb0EEvPiS0_S0_PKiiii
    .private_segment_fixed_size: 0
    .sgpr_count:     16
    .sgpr_spill_count: 0
    .symbol:         _Z24compute_batched_moe_dataILb0EEvPiS0_S0_PKiiii.kd
    .uniform_work_group_size: 1
    .uses_dynamic_stack: false
    .vgpr_count:     6
    .vgpr_spill_count: 0
    .wavefront_size: 32
    .workgroup_processor_mode: 1
  - .args:
      - .address_space:  global
        .offset:         0
        .size:           8
        .value_kind:     global_buffer
      - .address_space:  global
        .offset:         8
        .size:           8
        .value_kind:     global_buffer
      - .address_space:  global
        .offset:         16
        .size:           8
        .value_kind:     global_buffer
      - .actual_access:  read_only
        .address_space:  global
        .offset:         24
        .size:           8
        .value_kind:     global_buffer
      - .offset:         32
        .size:           4
        .value_kind:     by_value
      - .offset:         36
        .size:           4
        .value_kind:     by_value
      - .offset:         40
        .size:           4
        .value_kind:     by_value
    .group_segment_fixed_size: 0
    .kernarg_segment_align: 8
    .kernarg_segment_size: 44
    .language:       OpenCL C
    .language_version:
      - 2
      - 0
    .max_flat_workgroup_size: 1024
    .name:           _Z24compute_batched_moe_dataILb1EEvPiS0_S0_PKiiii
    .private_segment_fixed_size: 0
    .sgpr_count:     16
    .sgpr_spill_count: 0
    .symbol:         _Z24compute_batched_moe_dataILb1EEvPiS0_S0_PKiiii.kd
    .uniform_work_group_size: 1
    .uses_dynamic_stack: false
    .vgpr_count:     6
    .vgpr_spill_count: 0
    .wavefront_size: 32
    .workgroup_processor_mode: 1
amdhsa.target:   amdgcn-amd-amdhsa--gfx1030
amdhsa.version:
  - 1
  - 2
...

	.end_amdgpu_metadata
